;; amdgpu-corpus repo=ROCm/hip-tests kind=compiled arch=gfx90a opt=O3
	.text
	.amdgcn_target "amdgcn-amd-amdhsa--gfx90a"
	.amdhsa_code_object_version 6
	.protected	_Z7kernel1PmmS_S_       ; -- Begin function _Z7kernel1PmmS_S_
	.globl	_Z7kernel1PmmS_S_
	.p2align	8
	.type	_Z7kernel1PmmS_S_,@function
_Z7kernel1PmmS_S_:                      ; @_Z7kernel1PmmS_S_
; %bb.0:
	s_load_dword s0, s[4:5], 0x2c
	s_load_dwordx8 s[8:15], s[4:5], 0x0
	s_memrealtime s[2:3]
	v_mov_b32_e32 v1, 0
	s_memtime s[4:5]
	s_waitcnt lgkmcnt(0)
	s_and_b32 s0, s0, 0xffff
	s_mul_i32 s6, s6, s0
	v_add_u32_e32 v0, s6, v0
	s_cmp_eq_u64 s[10:11], 0
	s_mov_b64 s[6:7], 0
	s_cbranch_scc1 .LBB0_3
; %bb.1:
	s_sub_u32 s10, 0, s10
	s_subb_u32 s11, 0, s11
	s_mov_b32 s18, 0x4b525c73
	s_mov_b32 s19, 0x3c11d5
	s_movk_i32 s20, 0x443
	s_movk_i32 s21, 0x442
	s_mov_b64 s[16:17], 0
	v_pk_mov_b32 v[2:3], v[0:1], v[0:1] op_sel:[0,1]
.LBB0_2:                                ; =>This Inner Loop Header: Depth=1
	v_mad_u64_u32 v[4:5], s[0:1], v2, s16, 0
	s_add_u32 s0, 0, 0x306e7300
	s_addc_u32 s1, 0, 21
	s_mul_hi_u32 s23, s0, 0xffffffdb
	s_add_i32 s24, s1, 0x6eb3e30
	s_sub_i32 s1, s23, s0
	s_mul_i32 s26, s24, 0xffffffdb
	s_mul_i32 s22, s0, 0xffffffdb
	s_add_i32 s1, s1, s26
	s_mul_hi_u32 s23, s0, s22
	s_mul_i32 s27, s0, s1
	s_mul_hi_u32 s26, s0, s1
	s_add_u32 s23, s23, s27
	s_mul_hi_u32 s25, s24, s22
	s_mul_i32 s22, s24, s22
	s_addc_u32 s26, 0, s26
	s_add_u32 s22, s23, s22
	s_mul_hi_u32 s28, s24, s1
	s_addc_u32 s22, s26, s25
	s_mul_i32 s1, s24, s1
	s_addc_u32 s23, s28, 0
	v_mul_lo_u32 v6, v3, s16
	v_mul_lo_u32 v7, v2, s17
	s_add_u32 s1, s22, s1
	v_add3_u32 v5, v5, v7, v6
	v_mov_b32_e32 v6, s1
	s_addc_u32 s22, 0, s23
	v_add_co_u32_e32 v6, vcc, s0, v6
	s_cmp_lg_u64 vcc, 0
	s_addc_u32 s22, s24, s22
	v_mul_hi_u32 v13, v4, v6
	v_mad_u64_u32 v[8:9], s[0:1], v4, s22, 0
	v_add_co_u32_e32 v8, vcc, v13, v8
	v_mad_u64_u32 v[6:7], s[0:1], v5, v6, 0
	v_addc_co_u32_e32 v9, vcc, 0, v9, vcc
	v_add_co_u32_e32 v6, vcc, v8, v6
	v_mad_u64_u32 v[10:11], s[0:1], v5, s22, 0
	v_addc_co_u32_e32 v6, vcc, v9, v7, vcc
	v_addc_co_u32_e32 v7, vcc, 0, v11, vcc
	v_add_co_u32_e32 v10, vcc, v6, v10
	v_addc_co_u32_e32 v11, vcc, 0, v7, vcc
	v_mad_u64_u32 v[6:7], s[0:1], v10, 37, 0
	v_add_co_u32_e32 v13, vcc, 1, v10
	v_add_co_u32_e64 v14, s[0:1], 2, v10
	v_mov_b32_e32 v8, v7
	v_addc_co_u32_e32 v15, vcc, 0, v11, vcc
	v_addc_co_u32_e64 v7, s[0:1], 0, v11, s[0:1]
	v_mad_u64_u32 v[8:9], s[0:1], v11, 37, v[8:9]
	v_sub_co_u32_e32 v4, vcc, v4, v6
	v_subb_co_u32_e32 v5, vcc, v5, v8, vcc
	v_cmp_lt_u32_e32 vcc, 36, v4
	v_cndmask_b32_e64 v6, 0, -1, vcc
	v_subrev_co_u32_e32 v4, vcc, 37, v4
	v_subbrev_co_u32_e32 v8, vcc, 0, v5, vcc
	v_cmp_lt_u32_e32 vcc, 36, v4
	v_cndmask_b32_e64 v4, 0, -1, vcc
	v_cmp_eq_u32_e32 vcc, 0, v5
	v_cndmask_b32_e32 v5, -1, v6, vcc
	v_cmp_eq_u32_e32 vcc, 0, v8
	v_cndmask_b32_e32 v4, -1, v4, vcc
	v_cmp_ne_u32_e32 vcc, 0, v4
	v_cmp_ne_u32_e64 s[0:1], 0, v5
	v_cndmask_b32_e32 v5, v13, v14, vcc
	v_cndmask_b32_e32 v4, v15, v7, vcc
	v_cndmask_b32_e64 v5, v10, v5, s[0:1]
	v_cndmask_b32_e64 v4, v11, v4, s[0:1]
	v_add_co_u32_e32 v2, vcc, v2, v5
	v_addc_co_u32_e32 v3, vcc, v3, v4, vcc
	v_mov_b32_e32 v12, s7
	v_add_co_u32_e32 v8, vcc, s6, v2
	v_addc_co_u32_e32 v9, vcc, v12, v3, vcc
	v_mad_u64_u32 v[4:5], s[0:1], v8, s19, 0
	v_mul_hi_u32 v10, v8, s18
	v_add_co_u32_e32 v4, vcc, v10, v4
	v_mad_u64_u32 v[2:3], s[0:1], v9, s18, 0
	v_addc_co_u32_e32 v5, vcc, 0, v5, vcc
	v_add_co_u32_e32 v2, vcc, v4, v2
	v_mad_u64_u32 v[6:7], s[0:1], v9, s19, 0
	v_addc_co_u32_e32 v2, vcc, v5, v3, vcc
	v_addc_co_u32_e32 v3, vcc, 0, v7, vcc
	v_add_co_u32_e32 v6, vcc, v2, v6
	v_addc_co_u32_e32 v7, vcc, 0, v3, vcc
	v_mad_u64_u32 v[2:3], s[0:1], v6, s20, 0
	v_add_co_u32_e32 v10, vcc, 1, v6
	v_add_co_u32_e64 v11, s[0:1], 2, v6
	v_mov_b32_e32 v4, v3
	v_addc_co_u32_e32 v12, vcc, 0, v7, vcc
	v_addc_co_u32_e64 v3, s[0:1], 0, v7, s[0:1]
	v_mad_u64_u32 v[4:5], s[0:1], v7, s20, v[4:5]
	v_sub_co_u32_e32 v2, vcc, v8, v2
	v_subb_co_u32_e32 v4, vcc, v9, v4, vcc
	v_subrev_co_u32_e32 v5, vcc, s20, v2
	v_subbrev_co_u32_e32 v8, vcc, 0, v4, vcc
	v_cmp_lt_u32_e64 s[0:1], s21, v2
	v_cmp_lt_u32_e32 vcc, s21, v5
	v_cndmask_b32_e64 v2, 0, -1, s[0:1]
	v_cndmask_b32_e64 v5, 0, -1, vcc
	v_cmp_eq_u32_e32 vcc, 0, v4
	s_add_u32 s16, s16, 1
	v_cndmask_b32_e32 v2, -1, v2, vcc
	v_cmp_eq_u32_e32 vcc, 0, v8
	s_addc_u32 s17, s17, 0
	v_cndmask_b32_e32 v4, -1, v5, vcc
	s_add_u32 s6, s6, -1
	v_cmp_ne_u32_e32 vcc, 0, v4
	s_addc_u32 s7, s7, -1
	v_cndmask_b32_e32 v3, v12, v3, vcc
	v_cmp_ne_u32_e64 s[0:1], 0, v2
	v_cndmask_b32_e32 v2, v10, v11, vcc
	s_cmp_eq_u64 s[10:11], s[6:7]
	v_cndmask_b32_e64 v3, v7, v3, s[0:1]
	v_cndmask_b32_e64 v2, v6, v2, s[0:1]
	s_cbranch_scc0 .LBB0_2
	s_branch .LBB0_4
.LBB0_3:
	v_pk_mov_b32 v[2:3], v[0:1], v[0:1] op_sel:[0,1]
.LBB0_4:
	v_lshlrev_b64 v[0:1], 3, v[0:1]
	v_mov_b32_e32 v5, s9
	v_add_co_u32_e32 v4, vcc, s8, v0
	v_addc_co_u32_e32 v5, vcc, v5, v1, vcc
	global_store_dwordx2 v[4:5], v[2:3], off
	s_memtime s[0:1]
	v_mov_b32_e32 v3, s13
	v_add_co_u32_e32 v2, vcc, s12, v0
	v_addc_co_u32_e32 v3, vcc, v3, v1, vcc
	s_waitcnt lgkmcnt(0)
	s_sub_u32 s0, s0, s4
	s_subb_u32 s1, s1, s5
	v_pk_mov_b32 v[4:5], s[0:1], s[0:1] op_sel:[0,1]
	global_store_dwordx2 v[2:3], v[4:5], off
	s_memrealtime s[0:1]
	v_mov_b32_e32 v2, s15
	v_add_co_u32_e32 v0, vcc, s14, v0
	v_addc_co_u32_e32 v1, vcc, v2, v1, vcc
	s_waitcnt lgkmcnt(0)
	s_sub_u32 s0, s0, s2
	s_subb_u32 s1, s1, s3
	v_pk_mov_b32 v[2:3], s[0:1], s[0:1] op_sel:[0,1]
	global_store_dwordx2 v[0:1], v[2:3], off
	s_endpgm
	.section	.rodata,"a",@progbits
	.p2align	6, 0x0
	.amdhsa_kernel _Z7kernel1PmmS_S_
		.amdhsa_group_segment_fixed_size 0
		.amdhsa_private_segment_fixed_size 0
		.amdhsa_kernarg_size 288
		.amdhsa_user_sgpr_count 6
		.amdhsa_user_sgpr_private_segment_buffer 1
		.amdhsa_user_sgpr_dispatch_ptr 0
		.amdhsa_user_sgpr_queue_ptr 0
		.amdhsa_user_sgpr_kernarg_segment_ptr 1
		.amdhsa_user_sgpr_dispatch_id 0
		.amdhsa_user_sgpr_flat_scratch_init 0
		.amdhsa_user_sgpr_kernarg_preload_length 0
		.amdhsa_user_sgpr_kernarg_preload_offset 0
		.amdhsa_user_sgpr_private_segment_size 0
		.amdhsa_uses_dynamic_stack 0
		.amdhsa_system_sgpr_private_segment_wavefront_offset 0
		.amdhsa_system_sgpr_workgroup_id_x 1
		.amdhsa_system_sgpr_workgroup_id_y 0
		.amdhsa_system_sgpr_workgroup_id_z 0
		.amdhsa_system_sgpr_workgroup_info 0
		.amdhsa_system_vgpr_workitem_id 0
		.amdhsa_next_free_vgpr 16
		.amdhsa_next_free_sgpr 29
		.amdhsa_accum_offset 16
		.amdhsa_reserve_vcc 1
		.amdhsa_reserve_flat_scratch 0
		.amdhsa_float_round_mode_32 0
		.amdhsa_float_round_mode_16_64 0
		.amdhsa_float_denorm_mode_32 3
		.amdhsa_float_denorm_mode_16_64 3
		.amdhsa_dx10_clamp 1
		.amdhsa_ieee_mode 1
		.amdhsa_fp16_overflow 0
		.amdhsa_tg_split 0
		.amdhsa_exception_fp_ieee_invalid_op 0
		.amdhsa_exception_fp_denorm_src 0
		.amdhsa_exception_fp_ieee_div_zero 0
		.amdhsa_exception_fp_ieee_overflow 0
		.amdhsa_exception_fp_ieee_underflow 0
		.amdhsa_exception_fp_ieee_inexact 0
		.amdhsa_exception_int_div_zero 0
	.end_amdhsa_kernel
	.text
.Lfunc_end0:
	.size	_Z7kernel1PmmS_S_, .Lfunc_end0-_Z7kernel1PmmS_S_
                                        ; -- End function
	.section	.AMDGPU.csdata,"",@progbits
; Kernel info:
; codeLenInByte = 848
; NumSgprs: 33
; NumVgprs: 16
; NumAgprs: 0
; TotalNumVgprs: 16
; ScratchSize: 0
; MemoryBound: 0
; FloatMode: 240
; IeeeMode: 1
; LDSByteSize: 0 bytes/workgroup (compile time only)
; SGPRBlocks: 4
; VGPRBlocks: 1
; NumSGPRsForWavesPerEU: 33
; NumVGPRsForWavesPerEU: 16
; AccumOffset: 16
; Occupancy: 8
; WaveLimiterHint : 0
; COMPUTE_PGM_RSRC2:SCRATCH_EN: 0
; COMPUTE_PGM_RSRC2:USER_SGPR: 6
; COMPUTE_PGM_RSRC2:TRAP_HANDLER: 0
; COMPUTE_PGM_RSRC2:TGID_X_EN: 1
; COMPUTE_PGM_RSRC2:TGID_Y_EN: 0
; COMPUTE_PGM_RSRC2:TGID_Z_EN: 0
; COMPUTE_PGM_RSRC2:TIDIG_COMP_CNT: 0
; COMPUTE_PGM_RSRC3_GFX90A:ACCUM_OFFSET: 3
; COMPUTE_PGM_RSRC3_GFX90A:TG_SPLIT: 0
	.text
	.p2alignl 6, 3212836864
	.fill 256, 4, 3212836864
	.type	__hip_cuid_1cf7fb497f10bd0a,@object ; @__hip_cuid_1cf7fb497f10bd0a
	.section	.bss,"aw",@nobits
	.globl	__hip_cuid_1cf7fb497f10bd0a
__hip_cuid_1cf7fb497f10bd0a:
	.byte	0                               ; 0x0
	.size	__hip_cuid_1cf7fb497f10bd0a, 1

	.ident	"AMD clang version 19.0.0git (https://github.com/RadeonOpenCompute/llvm-project roc-6.4.0 25133 c7fe45cf4b819c5991fe208aaa96edf142730f1d)"
	.section	".note.GNU-stack","",@progbits
	.addrsig
	.addrsig_sym __hip_cuid_1cf7fb497f10bd0a
	.amdgpu_metadata
---
amdhsa.kernels:
  - .agpr_count:     0
    .args:
      - .address_space:  global
        .offset:         0
        .size:           8
        .value_kind:     global_buffer
      - .offset:         8
        .size:           8
        .value_kind:     by_value
      - .address_space:  global
        .offset:         16
        .size:           8
        .value_kind:     global_buffer
      - .address_space:  global
        .offset:         24
        .size:           8
        .value_kind:     global_buffer
      - .offset:         32
        .size:           4
        .value_kind:     hidden_block_count_x
      - .offset:         36
        .size:           4
        .value_kind:     hidden_block_count_y
      - .offset:         40
        .size:           4
        .value_kind:     hidden_block_count_z
      - .offset:         44
        .size:           2
        .value_kind:     hidden_group_size_x
      - .offset:         46
        .size:           2
        .value_kind:     hidden_group_size_y
      - .offset:         48
        .size:           2
        .value_kind:     hidden_group_size_z
      - .offset:         50
        .size:           2
        .value_kind:     hidden_remainder_x
      - .offset:         52
        .size:           2
        .value_kind:     hidden_remainder_y
      - .offset:         54
        .size:           2
        .value_kind:     hidden_remainder_z
      - .offset:         72
        .size:           8
        .value_kind:     hidden_global_offset_x
      - .offset:         80
        .size:           8
        .value_kind:     hidden_global_offset_y
      - .offset:         88
        .size:           8
        .value_kind:     hidden_global_offset_z
      - .offset:         96
        .size:           2
        .value_kind:     hidden_grid_dims
    .group_segment_fixed_size: 0
    .kernarg_segment_align: 8
    .kernarg_segment_size: 288
    .language:       OpenCL C
    .language_version:
      - 2
      - 0
    .max_flat_workgroup_size: 1024
    .name:           _Z7kernel1PmmS_S_
    .private_segment_fixed_size: 0
    .sgpr_count:     33
    .sgpr_spill_count: 0
    .symbol:         _Z7kernel1PmmS_S_.kd
    .uniform_work_group_size: 1
    .uses_dynamic_stack: false
    .vgpr_count:     16
    .vgpr_spill_count: 0
    .wavefront_size: 64
amdhsa.target:   amdgcn-amd-amdhsa--gfx90a
amdhsa.version:
  - 1
  - 2
...

	.end_amdgpu_metadata
